;; amdgpu-corpus repo=zjin-lcf/HeCBench kind=compiled arch=gfx1250 opt=O3
	.amdgcn_target "amdgcn-amd-amdhsa--gfx1250"
	.amdhsa_code_object_version 6
	.section	.text._Z15bilateralFilterILi3EEvPKfPfiifff,"axG",@progbits,_Z15bilateralFilterILi3EEvPKfPfiifff,comdat
	.protected	_Z15bilateralFilterILi3EEvPKfPfiifff ; -- Begin function _Z15bilateralFilterILi3EEvPKfPfiifff
	.globl	_Z15bilateralFilterILi3EEvPKfPfiifff
	.p2align	8
	.type	_Z15bilateralFilterILi3EEvPKfPfiifff,@function
_Z15bilateralFilterILi3EEvPKfPfiifff:   ; @_Z15bilateralFilterILi3EEvPKfPfiifff
; %bb.0:
	s_clause 0x1
	s_load_b32 s2, s[0:1], 0x34
	s_load_b128 s[4:7], s[0:1], 0x10
	s_bfe_u32 s8, ttmp6, 0x4000c
	s_bfe_u32 s9, ttmp6, 0x40010
	s_add_co_i32 s8, s8, 1
	s_add_co_i32 s9, s9, 1
	s_and_b32 s3, ttmp6, 15
	s_bfe_u32 s10, ttmp6, 0x40004
	s_mul_i32 s8, ttmp9, s8
	s_mul_i32 s9, ttmp7, s9
	s_getreg_b32 s11, hwreg(HW_REG_IB_STS2, 6, 4)
	v_and_b32_e32 v1, 0x3ff, v0
	v_bfe_u32 v0, v0, 10, 10
	s_add_co_i32 s3, s3, s8
	s_add_co_i32 s10, s10, s9
	s_wait_kmcnt 0x0
	s_lshr_b32 s8, s2, 16
	s_and_b32 s2, s2, 0xffff
	s_cmp_eq_u32 s11, 0
	s_cselect_b32 s3, ttmp9, s3
	s_cselect_b32 s9, ttmp7, s10
	v_mad_u32 v8, s3, s2, v1
	v_mad_u32 v9, s9, s8, v0
	s_delay_alu instid0(VALU_DEP_2) | instskip(NEXT) | instid1(VALU_DEP_2)
	v_cmp_gt_i32_e32 vcc_lo, s4, v8
	v_cmp_gt_i32_e64 s2, s5, v9
	s_and_b32 s2, vcc_lo, s2
	s_delay_alu instid0(SALU_CYCLE_1)
	s_and_saveexec_b32 s3, s2
	s_cbranch_execz .LBB0_8
; %bb.1:
	s_load_b128 s[8:11], s[0:1], 0x0
	v_mad_u32 v0, v9, s4, v8
	s_wait_xcnt 0x0
	s_load_b32 s0, s[0:1], 0x20
	s_wait_xcnt 0x0
	s_mov_b32 s1, s7
	v_mov_b64_e32 v[4:5], 0
	s_mov_b32 s2, -3
	s_delay_alu instid0(VALU_DEP_2) | instskip(SKIP_4) | instid1(VALU_DEP_1)
	v_ashrrev_i32_e32 v1, 31, v0
	s_wait_kmcnt 0x0
	global_load_b32 v10, v0, s[8:9] scale_offset
	v_mov_b64_e32 v[2:3], s[0:1]
	s_add_co_i32 s1, s5, 1
	v_pk_add_f32 v[2:3], v[2:3], v[2:3]
	s_branch .LBB0_3
.LBB0_2:                                ;   in Loop: Header=BB0_3 Depth=1
	s_add_co_i32 s2, s2, 1
	s_delay_alu instid0(SALU_CYCLE_1)
	s_cmp_eq_u32 s2, 4
	s_cbranch_scc1 .LBB0_7
.LBB0_3:                                ; =>This Loop Header: Depth=1
                                        ;     Child Loop BB0_5 Depth 2
	v_add_nc_u32_e32 v6, s2, v8
	s_not_b32 s0, s2
	s_mov_b32 s3, -6
	s_add_co_i32 s0, s4, s0
	s_mov_b32 s7, s1
	v_sub_nc_u32_e32 v7, 0, v6
	s_delay_alu instid0(VALU_DEP_1) | instskip(NEXT) | instid1(VALU_DEP_1)
	v_max_i32_e32 v6, v6, v7
	v_cmp_gt_i32_e32 vcc_lo, s4, v6
	v_cndmask_b32_e32 v11, s0, v6, vcc_lo
	s_delay_alu instid0(VALU_DEP_1) | instskip(NEXT) | instid1(VALU_DEP_1)
	v_sub_nc_u32_e32 v6, v11, v8
	v_mul_lo_u32 v12, v6, v6
	v_mov_b64_e32 v[6:7], v[4:5]
	s_branch .LBB0_5
.LBB0_4:                                ;   in Loop: Header=BB0_3 Depth=1
                                        ; implicit-def: $vgpr6_vgpr7
                                        ; implicit-def: $sgpr7
                                        ; implicit-def: $sgpr3
	s_branch .LBB0_2
.LBB0_5:                                ;   Parent Loop BB0_3 Depth=1
                                        ; =>  This Inner Loop Header: Depth=2
	v_add_nc_u32_e32 v13, s3, v9
	s_add_co_i32 s0, s7, 1
	s_cmp_eq_u32 s3, 0
	s_delay_alu instid0(VALU_DEP_1) | instskip(NEXT) | instid1(VALU_DEP_1)
	v_sub_nc_u32_e32 v4, -3, v13
	v_add_max_i32_e64 v4, v13, 3, v4
	s_delay_alu instid0(VALU_DEP_1) | instskip(SKIP_1) | instid1(VALU_DEP_1)
	v_cmp_gt_i32_e32 vcc_lo, s5, v4
	v_cndmask_b32_e32 v4, s0, v4, vcc_lo
	v_mad_u32 v5, v4, s4, v11
	global_load_b32 v14, v5, s[8:9] scale_offset
	s_wait_loadcnt 0x0
	v_sub_f32_e32 v5, v10, v14
	s_delay_alu instid0(VALU_DEP_1) | instskip(SKIP_1) | instid1(VALU_DEP_2)
	v_mul_f32_e32 v5, v5, v5
	v_sub_nc_u32_e32 v4, v4, v9
	v_div_scale_f32 v15, null, v3, v3, v5
	s_delay_alu instid0(VALU_DEP_2) | instskip(SKIP_1) | instid1(VALU_DEP_3)
	v_mad_u32 v4, v4, v4, v12
	v_div_scale_f32 v21, vcc_lo, v5, v3, v5
	v_rcp_f32_e32 v17, v15
	v_nop
	s_delay_alu instid0(TRANS32_DEP_1) | instskip(NEXT) | instid1(VALU_DEP_1)
	v_fma_f32 v19, -v15, v17, 1.0
	v_dual_fmac_f32 v17, v19, v17 :: v_dual_sub_nc_u32 v4, 0, v4
	s_delay_alu instid0(VALU_DEP_1) | instskip(NEXT) | instid1(VALU_DEP_1)
	v_cvt_f32_i32_e32 v4, v4
	v_div_scale_f32 v16, null, v2, v2, v4
	v_div_scale_f32 v19, s0, v4, v2, v4
	s_delay_alu instid0(VALU_DEP_2) | instskip(SKIP_1) | instid1(TRANS32_DEP_1)
	v_rcp_f32_e32 v18, v16
	v_nop
	v_fma_f32 v20, -v16, v18, 1.0
	s_delay_alu instid0(VALU_DEP_1) | instskip(NEXT) | instid1(VALU_DEP_1)
	v_dual_fmac_f32 v18, v20, v18 :: v_dual_mul_f32 v20, v21, v17
	v_fma_f32 v23, -v15, v20, v21
	s_delay_alu instid0(VALU_DEP_1) | instskip(NEXT) | instid1(VALU_DEP_1)
	v_fmac_f32_e32 v20, v23, v17
	v_fma_f32 v15, -v15, v20, v21
	s_delay_alu instid0(VALU_DEP_1) | instskip(SKIP_1) | instid1(VALU_DEP_1)
	v_div_fmas_f32 v15, v15, v17, v20
	s_mov_b32 vcc_lo, s0
	v_div_fixup_f32 v5, v15, v3, v5
	v_mul_f32_e32 v22, v19, v18
	s_delay_alu instid0(VALU_DEP_1) | instskip(NEXT) | instid1(VALU_DEP_1)
	v_fma_f32 v24, -v16, v22, v19
	v_fmac_f32_e32 v22, v24, v18
	s_delay_alu instid0(VALU_DEP_1) | instskip(NEXT) | instid1(VALU_DEP_1)
	v_fma_f32 v16, -v16, v22, v19
	v_div_fmas_f32 v16, v16, v18, v22
	s_delay_alu instid0(VALU_DEP_1) | instskip(NEXT) | instid1(VALU_DEP_1)
	v_div_fixup_f32 v4, v16, v2, v4
	v_sub_f32_e32 v4, v4, v5
	s_delay_alu instid0(VALU_DEP_1) | instskip(SKIP_1) | instid1(VALU_DEP_2)
	v_mul_f32_e32 v5, 0x3fb8aa3b, v4
	v_cmp_ngt_f32_e32 vcc_lo, 0xc2ce8ed0, v4
	v_fma_f32 v15, 0x3fb8aa3b, v4, -v5
	v_rndne_f32_e32 v16, v5
	s_delay_alu instid0(VALU_DEP_2) | instskip(NEXT) | instid1(VALU_DEP_2)
	v_fmac_f32_e32 v15, 0x32a5705f, v4
	v_sub_f32_e32 v5, v5, v16
	s_delay_alu instid0(VALU_DEP_1) | instskip(SKIP_1) | instid1(VALU_DEP_2)
	v_add_f32_e32 v5, v5, v15
	v_cvt_i32_f32_e32 v15, v16
	v_exp_f32_e32 v5, v5
	v_nop
	s_delay_alu instid0(TRANS32_DEP_1) | instskip(NEXT) | instid1(VALU_DEP_1)
	v_ldexp_f32 v5, v5, v15
	v_cndmask_b32_e32 v5, 0, v5, vcc_lo
	v_cmp_nlt_f32_e32 vcc_lo, 0x42b17218, v4
	s_delay_alu instid0(VALU_DEP_2) | instskip(NEXT) | instid1(VALU_DEP_1)
	v_cndmask_b32_e32 v4, 0x7f800000, v5, vcc_lo
	v_mul_f32_e32 v5, s6, v4
	s_delay_alu instid0(VALU_DEP_1) | instskip(NEXT) | instid1(VALU_DEP_1)
	v_mul_f32_e32 v4, v14, v5
	v_pk_add_f32 v[4:5], v[6:7], v[4:5]
	s_cbranch_scc1 .LBB0_4
; %bb.6:                                ;   in Loop: Header=BB0_5 Depth=2
	v_sub_nc_u32_e32 v6, -4, v13
	s_add_co_i32 s3, s3, 2
	s_delay_alu instid0(VALU_DEP_1) | instskip(NEXT) | instid1(VALU_DEP_1)
	v_add_max_i32_e64 v6, v13, 4, v6
	v_cmp_gt_i32_e32 vcc_lo, s5, v6
	v_cndmask_b32_e32 v6, s7, v6, vcc_lo
	s_add_co_i32 s7, s7, -2
	s_delay_alu instid0(VALU_DEP_1) | instskip(SKIP_3) | instid1(VALU_DEP_1)
	v_mad_u32 v7, v6, s4, v11
	global_load_b32 v13, v7, s[8:9] scale_offset
	s_wait_loadcnt 0x0
	v_sub_f32_e32 v7, v10, v13
	v_mul_f32_e32 v7, v7, v7
	s_delay_alu instid0(VALU_DEP_1) | instskip(SKIP_1) | instid1(VALU_DEP_2)
	v_div_scale_f32 v14, null, v3, v3, v7
	v_div_scale_f32 v20, vcc_lo, v7, v3, v7
	v_rcp_f32_e32 v16, v14
	v_nop
	s_delay_alu instid0(TRANS32_DEP_1) | instskip(NEXT) | instid1(VALU_DEP_1)
	v_fma_f32 v18, -v14, v16, 1.0
	v_fmac_f32_e32 v16, v18, v16
	v_sub_nc_u32_e32 v6, v6, v9
	s_delay_alu instid0(VALU_DEP_1) | instskip(NEXT) | instid1(VALU_DEP_1)
	v_mad_u32 v6, v6, v6, v12
	v_sub_nc_u32_e32 v6, 0, v6
	s_delay_alu instid0(VALU_DEP_1) | instskip(NEXT) | instid1(VALU_DEP_1)
	v_cvt_f32_i32_e32 v6, v6
	v_div_scale_f32 v15, null, v2, v2, v6
	v_div_scale_f32 v18, s0, v6, v2, v6
	s_delay_alu instid0(VALU_DEP_2) | instskip(SKIP_1) | instid1(TRANS32_DEP_1)
	v_rcp_f32_e32 v17, v15
	v_nop
	v_fma_f32 v19, -v15, v17, 1.0
	s_delay_alu instid0(VALU_DEP_1) | instskip(NEXT) | instid1(VALU_DEP_1)
	v_fmac_f32_e32 v17, v19, v17
	v_dual_mul_f32 v21, v18, v17 :: v_dual_mul_f32 v19, v20, v16
	s_delay_alu instid0(VALU_DEP_1) | instskip(NEXT) | instid1(VALU_DEP_1)
	v_dual_fma_f32 v23, -v15, v21, v18 :: v_dual_fma_f32 v22, -v14, v19, v20
	v_dual_fmac_f32 v21, v23, v17 :: v_dual_fmac_f32 v19, v22, v16
	s_delay_alu instid0(VALU_DEP_1) | instskip(NEXT) | instid1(VALU_DEP_1)
	v_dual_fma_f32 v15, -v15, v21, v18 :: v_dual_fma_f32 v14, -v14, v19, v20
	v_div_fmas_f32 v14, v14, v16, v19
	s_mov_b32 vcc_lo, s0
	s_delay_alu instid0(VALU_DEP_2) | instskip(NEXT) | instid1(VALU_DEP_2)
	v_div_fmas_f32 v15, v15, v17, v21
	v_div_fixup_f32 v7, v14, v3, v7
	s_delay_alu instid0(VALU_DEP_2) | instskip(NEXT) | instid1(VALU_DEP_1)
	v_div_fixup_f32 v6, v15, v2, v6
	v_sub_f32_e32 v6, v6, v7
	s_delay_alu instid0(VALU_DEP_1) | instskip(NEXT) | instid1(VALU_DEP_1)
	v_mul_f32_e32 v7, 0x3fb8aa3b, v6
	v_fma_f32 v14, 0x3fb8aa3b, v6, -v7
	v_rndne_f32_e32 v15, v7
	s_delay_alu instid0(VALU_DEP_1) | instskip(NEXT) | instid1(VALU_DEP_1)
	v_dual_fmac_f32 v14, 0x32a5705f, v6 :: v_dual_sub_f32 v7, v7, v15
	v_add_f32_e32 v7, v7, v14
	v_cvt_i32_f32_e32 v14, v15
	v_cmp_ngt_f32_e32 vcc_lo, 0xc2ce8ed0, v6
	s_delay_alu instid0(VALU_DEP_3) | instskip(SKIP_1) | instid1(TRANS32_DEP_1)
	v_exp_f32_e32 v7, v7
	v_nop
	v_ldexp_f32 v7, v7, v14
	s_delay_alu instid0(VALU_DEP_1) | instskip(SKIP_1) | instid1(VALU_DEP_2)
	v_cndmask_b32_e32 v7, 0, v7, vcc_lo
	v_cmp_nlt_f32_e32 vcc_lo, 0x42b17218, v6
	v_cndmask_b32_e32 v6, 0x7f800000, v7, vcc_lo
	s_delay_alu instid0(VALU_DEP_1) | instskip(NEXT) | instid1(VALU_DEP_1)
	v_mul_f32_e32 v7, s6, v6
	v_mul_f32_e32 v6, v13, v7
	s_delay_alu instid0(VALU_DEP_1)
	v_pk_add_f32 v[6:7], v[4:5], v[6:7]
	s_cbranch_execnz .LBB0_5
	s_branch .LBB0_2
.LBB0_7:
	v_div_scale_f32 v2, null, v5, v5, v4
	v_div_scale_f32 v7, vcc_lo, v4, v5, v4
	v_lshl_add_u64 v[0:1], v[0:1], 2, s[10:11]
	s_delay_alu instid0(VALU_DEP_3) | instskip(SKIP_1) | instid1(TRANS32_DEP_1)
	v_rcp_f32_e32 v3, v2
	v_nop
	v_fma_f32 v6, -v2, v3, 1.0
	s_delay_alu instid0(VALU_DEP_1) | instskip(NEXT) | instid1(VALU_DEP_1)
	v_fmac_f32_e32 v3, v6, v3
	v_mul_f32_e32 v6, v7, v3
	s_delay_alu instid0(VALU_DEP_1) | instskip(NEXT) | instid1(VALU_DEP_1)
	v_fma_f32 v8, -v2, v6, v7
	v_fmac_f32_e32 v6, v8, v3
	s_delay_alu instid0(VALU_DEP_1) | instskip(NEXT) | instid1(VALU_DEP_1)
	v_fma_f32 v2, -v2, v6, v7
	v_div_fmas_f32 v2, v2, v3, v6
	s_delay_alu instid0(VALU_DEP_1)
	v_div_fixup_f32 v2, v2, v5, v4
	global_store_b32 v[0:1], v2, off
.LBB0_8:
	s_endpgm
	.section	.rodata,"a",@progbits
	.p2align	6, 0x0
	.amdhsa_kernel _Z15bilateralFilterILi3EEvPKfPfiifff
		.amdhsa_group_segment_fixed_size 0
		.amdhsa_private_segment_fixed_size 0
		.amdhsa_kernarg_size 296
		.amdhsa_user_sgpr_count 2
		.amdhsa_user_sgpr_dispatch_ptr 0
		.amdhsa_user_sgpr_queue_ptr 0
		.amdhsa_user_sgpr_kernarg_segment_ptr 1
		.amdhsa_user_sgpr_dispatch_id 0
		.amdhsa_user_sgpr_kernarg_preload_length 0
		.amdhsa_user_sgpr_kernarg_preload_offset 0
		.amdhsa_user_sgpr_private_segment_size 0
		.amdhsa_wavefront_size32 1
		.amdhsa_uses_dynamic_stack 0
		.amdhsa_enable_private_segment 0
		.amdhsa_system_sgpr_workgroup_id_x 1
		.amdhsa_system_sgpr_workgroup_id_y 1
		.amdhsa_system_sgpr_workgroup_id_z 0
		.amdhsa_system_sgpr_workgroup_info 0
		.amdhsa_system_vgpr_workitem_id 1
		.amdhsa_next_free_vgpr 25
		.amdhsa_next_free_sgpr 12
		.amdhsa_named_barrier_count 0
		.amdhsa_reserve_vcc 1
		.amdhsa_float_round_mode_32 0
		.amdhsa_float_round_mode_16_64 0
		.amdhsa_float_denorm_mode_32 3
		.amdhsa_float_denorm_mode_16_64 3
		.amdhsa_fp16_overflow 0
		.amdhsa_memory_ordered 1
		.amdhsa_forward_progress 1
		.amdhsa_inst_pref_size 11
		.amdhsa_round_robin_scheduling 0
		.amdhsa_exception_fp_ieee_invalid_op 0
		.amdhsa_exception_fp_denorm_src 0
		.amdhsa_exception_fp_ieee_div_zero 0
		.amdhsa_exception_fp_ieee_overflow 0
		.amdhsa_exception_fp_ieee_underflow 0
		.amdhsa_exception_fp_ieee_inexact 0
		.amdhsa_exception_int_div_zero 0
	.end_amdhsa_kernel
	.section	.text._Z15bilateralFilterILi3EEvPKfPfiifff,"axG",@progbits,_Z15bilateralFilterILi3EEvPKfPfiifff,comdat
.Lfunc_end0:
	.size	_Z15bilateralFilterILi3EEvPKfPfiifff, .Lfunc_end0-_Z15bilateralFilterILi3EEvPKfPfiifff
                                        ; -- End function
	.set _Z15bilateralFilterILi3EEvPKfPfiifff.num_vgpr, 25
	.set _Z15bilateralFilterILi3EEvPKfPfiifff.num_agpr, 0
	.set _Z15bilateralFilterILi3EEvPKfPfiifff.numbered_sgpr, 12
	.set _Z15bilateralFilterILi3EEvPKfPfiifff.num_named_barrier, 0
	.set _Z15bilateralFilterILi3EEvPKfPfiifff.private_seg_size, 0
	.set _Z15bilateralFilterILi3EEvPKfPfiifff.uses_vcc, 1
	.set _Z15bilateralFilterILi3EEvPKfPfiifff.uses_flat_scratch, 0
	.set _Z15bilateralFilterILi3EEvPKfPfiifff.has_dyn_sized_stack, 0
	.set _Z15bilateralFilterILi3EEvPKfPfiifff.has_recursion, 0
	.set _Z15bilateralFilterILi3EEvPKfPfiifff.has_indirect_call, 0
	.section	.AMDGPU.csdata,"",@progbits
; Kernel info:
; codeLenInByte = 1316
; TotalNumSgprs: 14
; NumVgprs: 25
; ScratchSize: 0
; MemoryBound: 0
; FloatMode: 240
; IeeeMode: 1
; LDSByteSize: 0 bytes/workgroup (compile time only)
; SGPRBlocks: 0
; VGPRBlocks: 1
; NumSGPRsForWavesPerEU: 14
; NumVGPRsForWavesPerEU: 25
; NamedBarCnt: 0
; Occupancy: 16
; WaveLimiterHint : 0
; COMPUTE_PGM_RSRC2:SCRATCH_EN: 0
; COMPUTE_PGM_RSRC2:USER_SGPR: 2
; COMPUTE_PGM_RSRC2:TRAP_HANDLER: 0
; COMPUTE_PGM_RSRC2:TGID_X_EN: 1
; COMPUTE_PGM_RSRC2:TGID_Y_EN: 1
; COMPUTE_PGM_RSRC2:TGID_Z_EN: 0
; COMPUTE_PGM_RSRC2:TIDIG_COMP_CNT: 1
	.section	.text._Z15bilateralFilterILi6EEvPKfPfiifff,"axG",@progbits,_Z15bilateralFilterILi6EEvPKfPfiifff,comdat
	.protected	_Z15bilateralFilterILi6EEvPKfPfiifff ; -- Begin function _Z15bilateralFilterILi6EEvPKfPfiifff
	.globl	_Z15bilateralFilterILi6EEvPKfPfiifff
	.p2align	8
	.type	_Z15bilateralFilterILi6EEvPKfPfiifff,@function
_Z15bilateralFilterILi6EEvPKfPfiifff:   ; @_Z15bilateralFilterILi6EEvPKfPfiifff
; %bb.0:
	s_clause 0x1
	s_load_b32 s2, s[0:1], 0x34
	s_load_b128 s[4:7], s[0:1], 0x10
	s_bfe_u32 s8, ttmp6, 0x4000c
	s_bfe_u32 s9, ttmp6, 0x40010
	s_add_co_i32 s8, s8, 1
	s_add_co_i32 s9, s9, 1
	s_and_b32 s3, ttmp6, 15
	s_bfe_u32 s10, ttmp6, 0x40004
	s_mul_i32 s8, ttmp9, s8
	s_mul_i32 s9, ttmp7, s9
	s_getreg_b32 s11, hwreg(HW_REG_IB_STS2, 6, 4)
	v_and_b32_e32 v1, 0x3ff, v0
	v_bfe_u32 v0, v0, 10, 10
	s_add_co_i32 s3, s3, s8
	s_add_co_i32 s10, s10, s9
	s_wait_kmcnt 0x0
	s_lshr_b32 s8, s2, 16
	s_and_b32 s2, s2, 0xffff
	s_cmp_eq_u32 s11, 0
	s_cselect_b32 s3, ttmp9, s3
	s_cselect_b32 s9, ttmp7, s10
	v_mad_u32 v8, s3, s2, v1
	v_mad_u32 v9, s9, s8, v0
	s_delay_alu instid0(VALU_DEP_2) | instskip(NEXT) | instid1(VALU_DEP_2)
	v_cmp_gt_i32_e32 vcc_lo, s4, v8
	v_cmp_gt_i32_e64 s2, s5, v9
	s_and_b32 s2, vcc_lo, s2
	s_delay_alu instid0(SALU_CYCLE_1)
	s_and_saveexec_b32 s3, s2
	s_cbranch_execz .LBB1_8
; %bb.1:
	s_load_b128 s[8:11], s[0:1], 0x0
	v_mad_u32 v0, v9, s4, v8
	s_wait_xcnt 0x0
	s_load_b32 s0, s[0:1], 0x20
	s_wait_xcnt 0x0
	s_mov_b32 s1, s7
	v_mov_b64_e32 v[4:5], 0
	s_mov_b32 s2, -6
	s_delay_alu instid0(VALU_DEP_2) | instskip(SKIP_4) | instid1(VALU_DEP_1)
	v_ashrrev_i32_e32 v1, 31, v0
	s_wait_kmcnt 0x0
	global_load_b32 v10, v0, s[8:9] scale_offset
	v_mov_b64_e32 v[2:3], s[0:1]
	s_add_co_i32 s1, s5, 5
	v_pk_add_f32 v[2:3], v[2:3], v[2:3]
	s_branch .LBB1_3
.LBB1_2:                                ;   in Loop: Header=BB1_3 Depth=1
	s_add_co_i32 s2, s2, 1
	s_delay_alu instid0(SALU_CYCLE_1)
	s_cmp_eq_u32 s2, 7
	s_cbranch_scc1 .LBB1_7
.LBB1_3:                                ; =>This Loop Header: Depth=1
                                        ;     Child Loop BB1_5 Depth 2
	v_add_nc_u32_e32 v6, s2, v8
	s_not_b32 s0, s2
	s_mov_b32 s3, s1
	s_add_co_i32 s0, s4, s0
	s_mov_b32 s7, -6
	v_sub_nc_u32_e32 v7, 0, v6
	s_delay_alu instid0(VALU_DEP_1) | instskip(NEXT) | instid1(VALU_DEP_1)
	v_max_i32_e32 v6, v6, v7
	v_cmp_gt_i32_e32 vcc_lo, s4, v6
	v_cndmask_b32_e32 v11, s0, v6, vcc_lo
	s_delay_alu instid0(VALU_DEP_1) | instskip(NEXT) | instid1(VALU_DEP_1)
	v_sub_nc_u32_e32 v6, v11, v8
	v_mul_lo_u32 v12, v6, v6
	v_mov_b64_e32 v[6:7], v[4:5]
	s_branch .LBB1_5
.LBB1_4:                                ;   in Loop: Header=BB1_5 Depth=2
	s_and_not1_b32 vcc_lo, exec_lo, s0
	s_cbranch_vccz .LBB1_2
.LBB1_5:                                ;   Parent Loop BB1_3 Depth=1
                                        ; =>  This Inner Loop Header: Depth=2
	v_add_nc_u32_e32 v13, s7, v9
	s_cmp_eq_u32 s7, 6
	s_delay_alu instid0(VALU_DEP_1) | instskip(NEXT) | instid1(VALU_DEP_1)
	v_sub_nc_u32_e32 v4, 0, v13
	v_max_i32_e32 v4, v13, v4
	s_delay_alu instid0(VALU_DEP_1) | instskip(SKIP_1) | instid1(VALU_DEP_1)
	v_cmp_gt_i32_e32 vcc_lo, s5, v4
	v_cndmask_b32_e32 v4, s3, v4, vcc_lo
	v_mad_u32 v5, v4, s4, v11
	global_load_b32 v14, v5, s[8:9] scale_offset
	s_wait_loadcnt 0x0
	v_sub_f32_e32 v5, v10, v14
	s_delay_alu instid0(VALU_DEP_1) | instskip(SKIP_1) | instid1(VALU_DEP_2)
	v_mul_f32_e32 v5, v5, v5
	v_sub_nc_u32_e32 v4, v4, v9
	v_div_scale_f32 v15, null, v3, v3, v5
	s_delay_alu instid0(VALU_DEP_2) | instskip(SKIP_1) | instid1(VALU_DEP_3)
	v_mad_u32 v4, v4, v4, v12
	v_div_scale_f32 v21, vcc_lo, v5, v3, v5
	v_rcp_f32_e32 v17, v15
	v_nop
	s_delay_alu instid0(TRANS32_DEP_1) | instskip(NEXT) | instid1(VALU_DEP_1)
	v_fma_f32 v19, -v15, v17, 1.0
	v_dual_fmac_f32 v17, v19, v17 :: v_dual_sub_nc_u32 v4, 0, v4
	s_delay_alu instid0(VALU_DEP_1) | instskip(NEXT) | instid1(VALU_DEP_1)
	v_cvt_f32_i32_e32 v4, v4
	v_div_scale_f32 v16, null, v2, v2, v4
	v_div_scale_f32 v19, s0, v4, v2, v4
	s_delay_alu instid0(VALU_DEP_2) | instskip(SKIP_1) | instid1(TRANS32_DEP_1)
	v_rcp_f32_e32 v18, v16
	v_nop
	v_fma_f32 v20, -v16, v18, 1.0
	s_delay_alu instid0(VALU_DEP_1) | instskip(NEXT) | instid1(VALU_DEP_1)
	v_dual_fmac_f32 v18, v20, v18 :: v_dual_mul_f32 v20, v21, v17
	v_mul_f32_e32 v22, v19, v18
	s_delay_alu instid0(VALU_DEP_1) | instskip(NEXT) | instid1(VALU_DEP_1)
	v_dual_fma_f32 v23, -v15, v20, v21 :: v_dual_fma_f32 v24, -v16, v22, v19
	v_dual_fmac_f32 v20, v23, v17 :: v_dual_fmac_f32 v22, v24, v18
	s_delay_alu instid0(VALU_DEP_1) | instskip(NEXT) | instid1(VALU_DEP_1)
	v_dual_fma_f32 v15, -v15, v20, v21 :: v_dual_fma_f32 v16, -v16, v22, v19
	v_div_fmas_f32 v15, v15, v17, v20
	s_mov_b32 vcc_lo, s0
	s_mov_b32 s0, -1
	s_delay_alu instid0(VALU_DEP_2) | instskip(NEXT) | instid1(VALU_DEP_2)
	v_div_fmas_f32 v16, v16, v18, v22
	v_div_fixup_f32 v5, v15, v3, v5
	s_delay_alu instid0(VALU_DEP_2) | instskip(NEXT) | instid1(VALU_DEP_1)
	v_div_fixup_f32 v4, v16, v2, v4
	v_sub_f32_e32 v4, v4, v5
	s_delay_alu instid0(VALU_DEP_1) | instskip(NEXT) | instid1(VALU_DEP_1)
	v_mul_f32_e32 v5, 0x3fb8aa3b, v4
	v_fma_f32 v15, 0x3fb8aa3b, v4, -v5
	v_rndne_f32_e32 v16, v5
	s_delay_alu instid0(VALU_DEP_1) | instskip(NEXT) | instid1(VALU_DEP_3)
	v_sub_f32_e32 v5, v5, v16
	v_fmac_f32_e32 v15, 0x32a5705f, v4
	v_cmp_ngt_f32_e32 vcc_lo, 0xc2ce8ed0, v4
	s_delay_alu instid0(VALU_DEP_2) | instskip(SKIP_1) | instid1(VALU_DEP_2)
	v_add_f32_e32 v5, v5, v15
	v_cvt_i32_f32_e32 v15, v16
	v_exp_f32_e32 v5, v5
	v_nop
	s_delay_alu instid0(TRANS32_DEP_1) | instskip(NEXT) | instid1(VALU_DEP_1)
	v_ldexp_f32 v5, v5, v15
	v_cndmask_b32_e32 v5, 0, v5, vcc_lo
	v_cmp_nlt_f32_e32 vcc_lo, 0x42b17218, v4
	s_delay_alu instid0(VALU_DEP_2) | instskip(NEXT) | instid1(VALU_DEP_1)
	v_cndmask_b32_e32 v4, 0x7f800000, v5, vcc_lo
	v_mul_f32_e32 v5, s6, v4
	s_delay_alu instid0(VALU_DEP_1) | instskip(NEXT) | instid1(VALU_DEP_1)
	v_mul_f32_e32 v4, v14, v5
	v_pk_add_f32 v[4:5], v[6:7], v[4:5]
                                        ; implicit-def: $vgpr6_vgpr7
	s_cbranch_scc1 .LBB1_4
; %bb.6:                                ;   in Loop: Header=BB1_5 Depth=2
	v_not_b32_e32 v6, v13
	s_xor_b32 s0, s7, -2
	s_add_co_i32 s7, s7, 2
	s_add_co_i32 s0, s5, s0
	s_add_co_i32 s3, s3, -2
	v_add_max_i32_e64 v6, v13, 1, v6
	s_delay_alu instid0(VALU_DEP_1) | instskip(SKIP_1) | instid1(VALU_DEP_1)
	v_cmp_gt_i32_e32 vcc_lo, s5, v6
	v_cndmask_b32_e32 v6, s0, v6, vcc_lo
	v_mad_u32 v7, v6, s4, v11
	global_load_b32 v13, v7, s[8:9] scale_offset
	s_wait_loadcnt 0x0
	v_sub_f32_e32 v7, v10, v13
	s_delay_alu instid0(VALU_DEP_1) | instskip(NEXT) | instid1(VALU_DEP_1)
	v_dual_mul_f32 v7, v7, v7 :: v_dual_sub_nc_u32 v6, v6, v9
	v_mad_u32 v6, v6, v6, v12
	s_delay_alu instid0(VALU_DEP_2) | instskip(SKIP_1) | instid1(VALU_DEP_2)
	v_div_scale_f32 v14, null, v3, v3, v7
	v_div_scale_f32 v20, vcc_lo, v7, v3, v7
	v_rcp_f32_e32 v16, v14
	v_nop
	s_delay_alu instid0(TRANS32_DEP_1) | instskip(NEXT) | instid1(VALU_DEP_1)
	v_fma_f32 v18, -v14, v16, 1.0
	v_dual_sub_nc_u32 v6, 0, v6 :: v_dual_fmac_f32 v16, v18, v16
	s_delay_alu instid0(VALU_DEP_1) | instskip(NEXT) | instid1(VALU_DEP_1)
	v_cvt_f32_i32_e32 v6, v6
	v_div_scale_f32 v15, null, v2, v2, v6
	v_div_scale_f32 v18, s0, v6, v2, v6
	s_delay_alu instid0(VALU_DEP_2) | instskip(SKIP_1) | instid1(TRANS32_DEP_1)
	v_rcp_f32_e32 v17, v15
	v_nop
	v_fma_f32 v19, -v15, v17, 1.0
	s_delay_alu instid0(VALU_DEP_1) | instskip(NEXT) | instid1(VALU_DEP_1)
	v_dual_fmac_f32 v17, v19, v17 :: v_dual_mul_f32 v19, v20, v16
	v_mul_f32_e32 v21, v18, v17
	s_delay_alu instid0(VALU_DEP_1) | instskip(NEXT) | instid1(VALU_DEP_1)
	v_dual_fma_f32 v22, -v14, v19, v20 :: v_dual_fma_f32 v23, -v15, v21, v18
	v_dual_fmac_f32 v19, v22, v16 :: v_dual_fmac_f32 v21, v23, v17
	s_delay_alu instid0(VALU_DEP_1) | instskip(NEXT) | instid1(VALU_DEP_1)
	v_dual_fma_f32 v14, -v14, v19, v20 :: v_dual_fma_f32 v15, -v15, v21, v18
	v_div_fmas_f32 v14, v14, v16, v19
	s_mov_b32 vcc_lo, s0
	s_mov_b32 s0, 0
	s_delay_alu instid0(VALU_DEP_2) | instskip(NEXT) | instid1(VALU_DEP_2)
	v_div_fmas_f32 v15, v15, v17, v21
	v_div_fixup_f32 v7, v14, v3, v7
	s_delay_alu instid0(VALU_DEP_2) | instskip(NEXT) | instid1(VALU_DEP_1)
	v_div_fixup_f32 v6, v15, v2, v6
	v_sub_f32_e32 v6, v6, v7
	s_delay_alu instid0(VALU_DEP_1) | instskip(NEXT) | instid1(VALU_DEP_1)
	v_mul_f32_e32 v7, 0x3fb8aa3b, v6
	v_fma_f32 v14, 0x3fb8aa3b, v6, -v7
	v_rndne_f32_e32 v15, v7
	s_delay_alu instid0(VALU_DEP_1) | instskip(NEXT) | instid1(VALU_DEP_1)
	v_dual_fmac_f32 v14, 0x32a5705f, v6 :: v_dual_sub_f32 v7, v7, v15
	v_add_f32_e32 v7, v7, v14
	v_cvt_i32_f32_e32 v14, v15
	v_cmp_ngt_f32_e32 vcc_lo, 0xc2ce8ed0, v6
	s_delay_alu instid0(VALU_DEP_3) | instskip(SKIP_1) | instid1(TRANS32_DEP_1)
	v_exp_f32_e32 v7, v7
	v_nop
	v_ldexp_f32 v7, v7, v14
	s_delay_alu instid0(VALU_DEP_1) | instskip(SKIP_1) | instid1(VALU_DEP_2)
	v_cndmask_b32_e32 v7, 0, v7, vcc_lo
	v_cmp_nlt_f32_e32 vcc_lo, 0x42b17218, v6
	v_cndmask_b32_e32 v6, 0x7f800000, v7, vcc_lo
	s_delay_alu instid0(VALU_DEP_1) | instskip(NEXT) | instid1(VALU_DEP_1)
	v_mul_f32_e32 v7, s6, v6
	v_mul_f32_e32 v6, v13, v7
	s_delay_alu instid0(VALU_DEP_1)
	v_pk_add_f32 v[6:7], v[4:5], v[6:7]
	s_branch .LBB1_4
.LBB1_7:
	v_div_scale_f32 v2, null, v5, v5, v4
	v_div_scale_f32 v7, vcc_lo, v4, v5, v4
	v_lshl_add_u64 v[0:1], v[0:1], 2, s[10:11]
	s_delay_alu instid0(VALU_DEP_3) | instskip(SKIP_1) | instid1(TRANS32_DEP_1)
	v_rcp_f32_e32 v3, v2
	v_nop
	v_fma_f32 v6, -v2, v3, 1.0
	s_delay_alu instid0(VALU_DEP_1) | instskip(NEXT) | instid1(VALU_DEP_1)
	v_fmac_f32_e32 v3, v6, v3
	v_mul_f32_e32 v6, v7, v3
	s_delay_alu instid0(VALU_DEP_1) | instskip(NEXT) | instid1(VALU_DEP_1)
	v_fma_f32 v8, -v2, v6, v7
	v_fmac_f32_e32 v6, v8, v3
	s_delay_alu instid0(VALU_DEP_1) | instskip(NEXT) | instid1(VALU_DEP_1)
	v_fma_f32 v2, -v2, v6, v7
	v_div_fmas_f32 v2, v2, v3, v6
	s_delay_alu instid0(VALU_DEP_1)
	v_div_fixup_f32 v2, v2, v5, v4
	global_store_b32 v[0:1], v2, off
.LBB1_8:
	s_endpgm
	.section	.rodata,"a",@progbits
	.p2align	6, 0x0
	.amdhsa_kernel _Z15bilateralFilterILi6EEvPKfPfiifff
		.amdhsa_group_segment_fixed_size 0
		.amdhsa_private_segment_fixed_size 0
		.amdhsa_kernarg_size 296
		.amdhsa_user_sgpr_count 2
		.amdhsa_user_sgpr_dispatch_ptr 0
		.amdhsa_user_sgpr_queue_ptr 0
		.amdhsa_user_sgpr_kernarg_segment_ptr 1
		.amdhsa_user_sgpr_dispatch_id 0
		.amdhsa_user_sgpr_kernarg_preload_length 0
		.amdhsa_user_sgpr_kernarg_preload_offset 0
		.amdhsa_user_sgpr_private_segment_size 0
		.amdhsa_wavefront_size32 1
		.amdhsa_uses_dynamic_stack 0
		.amdhsa_enable_private_segment 0
		.amdhsa_system_sgpr_workgroup_id_x 1
		.amdhsa_system_sgpr_workgroup_id_y 1
		.amdhsa_system_sgpr_workgroup_id_z 0
		.amdhsa_system_sgpr_workgroup_info 0
		.amdhsa_system_vgpr_workitem_id 1
		.amdhsa_next_free_vgpr 25
		.amdhsa_next_free_sgpr 12
		.amdhsa_named_barrier_count 0
		.amdhsa_reserve_vcc 1
		.amdhsa_float_round_mode_32 0
		.amdhsa_float_round_mode_16_64 0
		.amdhsa_float_denorm_mode_32 3
		.amdhsa_float_denorm_mode_16_64 3
		.amdhsa_fp16_overflow 0
		.amdhsa_memory_ordered 1
		.amdhsa_forward_progress 1
		.amdhsa_inst_pref_size 11
		.amdhsa_round_robin_scheduling 0
		.amdhsa_exception_fp_ieee_invalid_op 0
		.amdhsa_exception_fp_denorm_src 0
		.amdhsa_exception_fp_ieee_div_zero 0
		.amdhsa_exception_fp_ieee_overflow 0
		.amdhsa_exception_fp_ieee_underflow 0
		.amdhsa_exception_fp_ieee_inexact 0
		.amdhsa_exception_int_div_zero 0
	.end_amdhsa_kernel
	.section	.text._Z15bilateralFilterILi6EEvPKfPfiifff,"axG",@progbits,_Z15bilateralFilterILi6EEvPKfPfiifff,comdat
.Lfunc_end1:
	.size	_Z15bilateralFilterILi6EEvPKfPfiifff, .Lfunc_end1-_Z15bilateralFilterILi6EEvPKfPfiifff
                                        ; -- End function
	.set _Z15bilateralFilterILi6EEvPKfPfiifff.num_vgpr, 25
	.set _Z15bilateralFilterILi6EEvPKfPfiifff.num_agpr, 0
	.set _Z15bilateralFilterILi6EEvPKfPfiifff.numbered_sgpr, 12
	.set _Z15bilateralFilterILi6EEvPKfPfiifff.num_named_barrier, 0
	.set _Z15bilateralFilterILi6EEvPKfPfiifff.private_seg_size, 0
	.set _Z15bilateralFilterILi6EEvPKfPfiifff.uses_vcc, 1
	.set _Z15bilateralFilterILi6EEvPKfPfiifff.uses_flat_scratch, 0
	.set _Z15bilateralFilterILi6EEvPKfPfiifff.has_dyn_sized_stack, 0
	.set _Z15bilateralFilterILi6EEvPKfPfiifff.has_recursion, 0
	.set _Z15bilateralFilterILi6EEvPKfPfiifff.has_indirect_call, 0
	.section	.AMDGPU.csdata,"",@progbits
; Kernel info:
; codeLenInByte = 1316
; TotalNumSgprs: 14
; NumVgprs: 25
; ScratchSize: 0
; MemoryBound: 0
; FloatMode: 240
; IeeeMode: 1
; LDSByteSize: 0 bytes/workgroup (compile time only)
; SGPRBlocks: 0
; VGPRBlocks: 1
; NumSGPRsForWavesPerEU: 14
; NumVGPRsForWavesPerEU: 25
; NamedBarCnt: 0
; Occupancy: 16
; WaveLimiterHint : 0
; COMPUTE_PGM_RSRC2:SCRATCH_EN: 0
; COMPUTE_PGM_RSRC2:USER_SGPR: 2
; COMPUTE_PGM_RSRC2:TRAP_HANDLER: 0
; COMPUTE_PGM_RSRC2:TGID_X_EN: 1
; COMPUTE_PGM_RSRC2:TGID_Y_EN: 1
; COMPUTE_PGM_RSRC2:TGID_Z_EN: 0
; COMPUTE_PGM_RSRC2:TIDIG_COMP_CNT: 1
	.section	.text._Z15bilateralFilterILi9EEvPKfPfiifff,"axG",@progbits,_Z15bilateralFilterILi9EEvPKfPfiifff,comdat
	.protected	_Z15bilateralFilterILi9EEvPKfPfiifff ; -- Begin function _Z15bilateralFilterILi9EEvPKfPfiifff
	.globl	_Z15bilateralFilterILi9EEvPKfPfiifff
	.p2align	8
	.type	_Z15bilateralFilterILi9EEvPKfPfiifff,@function
_Z15bilateralFilterILi9EEvPKfPfiifff:   ; @_Z15bilateralFilterILi9EEvPKfPfiifff
; %bb.0:
	s_clause 0x1
	s_load_b32 s2, s[0:1], 0x34
	s_load_b128 s[4:7], s[0:1], 0x10
	s_bfe_u32 s8, ttmp6, 0x4000c
	s_bfe_u32 s9, ttmp6, 0x40010
	s_add_co_i32 s8, s8, 1
	s_add_co_i32 s9, s9, 1
	s_and_b32 s3, ttmp6, 15
	s_bfe_u32 s10, ttmp6, 0x40004
	s_mul_i32 s8, ttmp9, s8
	s_mul_i32 s9, ttmp7, s9
	s_getreg_b32 s11, hwreg(HW_REG_IB_STS2, 6, 4)
	v_and_b32_e32 v1, 0x3ff, v0
	v_bfe_u32 v0, v0, 10, 10
	s_add_co_i32 s3, s3, s8
	s_add_co_i32 s10, s10, s9
	s_wait_kmcnt 0x0
	s_lshr_b32 s8, s2, 16
	s_and_b32 s2, s2, 0xffff
	s_cmp_eq_u32 s11, 0
	s_cselect_b32 s3, ttmp9, s3
	s_cselect_b32 s9, ttmp7, s10
	v_mad_u32 v8, s3, s2, v1
	v_mad_u32 v9, s9, s8, v0
	s_delay_alu instid0(VALU_DEP_2) | instskip(NEXT) | instid1(VALU_DEP_2)
	v_cmp_gt_i32_e32 vcc_lo, s4, v8
	v_cmp_gt_i32_e64 s2, s5, v9
	s_and_b32 s2, vcc_lo, s2
	s_delay_alu instid0(SALU_CYCLE_1)
	s_and_saveexec_b32 s3, s2
	s_cbranch_execz .LBB2_8
; %bb.1:
	s_load_b128 s[8:11], s[0:1], 0x0
	v_mad_u32 v0, v9, s4, v8
	s_wait_xcnt 0x0
	s_load_b32 s0, s[0:1], 0x20
	s_wait_xcnt 0x0
	s_mov_b32 s1, s7
	v_mov_b64_e32 v[4:5], 0
	s_mov_b32 s2, -9
	s_delay_alu instid0(VALU_DEP_2) | instskip(SKIP_4) | instid1(VALU_DEP_1)
	v_ashrrev_i32_e32 v1, 31, v0
	s_wait_kmcnt 0x0
	global_load_b32 v10, v0, s[8:9] scale_offset
	v_mov_b64_e32 v[2:3], s[0:1]
	s_add_co_i32 s1, s5, 7
	v_pk_add_f32 v[2:3], v[2:3], v[2:3]
	s_branch .LBB2_3
.LBB2_2:                                ;   in Loop: Header=BB2_3 Depth=1
	s_add_co_i32 s2, s2, 1
	s_delay_alu instid0(SALU_CYCLE_1)
	s_cmp_eq_u32 s2, 10
	s_cbranch_scc1 .LBB2_7
.LBB2_3:                                ; =>This Loop Header: Depth=1
                                        ;     Child Loop BB2_5 Depth 2
	v_add_nc_u32_e32 v6, s2, v8
	s_not_b32 s0, s2
	s_movk_i32 s3, 0xffee
	s_add_co_i32 s0, s4, s0
	s_mov_b32 s7, s1
	v_sub_nc_u32_e32 v7, 0, v6
	s_delay_alu instid0(VALU_DEP_1) | instskip(NEXT) | instid1(VALU_DEP_1)
	v_max_i32_e32 v6, v6, v7
	v_cmp_gt_i32_e32 vcc_lo, s4, v6
	v_cndmask_b32_e32 v11, s0, v6, vcc_lo
	s_delay_alu instid0(VALU_DEP_1) | instskip(NEXT) | instid1(VALU_DEP_1)
	v_sub_nc_u32_e32 v6, v11, v8
	v_mul_lo_u32 v12, v6, v6
	v_mov_b64_e32 v[6:7], v[4:5]
	s_branch .LBB2_5
.LBB2_4:                                ;   in Loop: Header=BB2_3 Depth=1
                                        ; implicit-def: $vgpr6_vgpr7
                                        ; implicit-def: $sgpr7
                                        ; implicit-def: $sgpr3
	s_branch .LBB2_2
.LBB2_5:                                ;   Parent Loop BB2_3 Depth=1
                                        ; =>  This Inner Loop Header: Depth=2
	v_add_nc_u32_e32 v13, s3, v9
	s_add_co_i32 s0, s7, 1
	s_cmp_eq_u32 s3, 0
	s_delay_alu instid0(VALU_DEP_1) | instskip(NEXT) | instid1(VALU_DEP_1)
	v_sub_nc_u32_e32 v4, -9, v13
	v_add_max_i32_e64 v4, v13, 9, v4
	s_delay_alu instid0(VALU_DEP_1) | instskip(SKIP_1) | instid1(VALU_DEP_1)
	v_cmp_gt_i32_e32 vcc_lo, s5, v4
	v_cndmask_b32_e32 v4, s0, v4, vcc_lo
	v_mad_u32 v5, v4, s4, v11
	global_load_b32 v14, v5, s[8:9] scale_offset
	s_wait_loadcnt 0x0
	v_sub_f32_e32 v5, v10, v14
	s_delay_alu instid0(VALU_DEP_1) | instskip(SKIP_1) | instid1(VALU_DEP_2)
	v_mul_f32_e32 v5, v5, v5
	v_sub_nc_u32_e32 v4, v4, v9
	v_div_scale_f32 v15, null, v3, v3, v5
	s_delay_alu instid0(VALU_DEP_2) | instskip(SKIP_1) | instid1(VALU_DEP_3)
	v_mad_u32 v4, v4, v4, v12
	v_div_scale_f32 v21, vcc_lo, v5, v3, v5
	v_rcp_f32_e32 v17, v15
	v_nop
	s_delay_alu instid0(TRANS32_DEP_1) | instskip(NEXT) | instid1(VALU_DEP_1)
	v_fma_f32 v19, -v15, v17, 1.0
	v_dual_fmac_f32 v17, v19, v17 :: v_dual_sub_nc_u32 v4, 0, v4
	s_delay_alu instid0(VALU_DEP_1) | instskip(NEXT) | instid1(VALU_DEP_1)
	v_cvt_f32_i32_e32 v4, v4
	v_div_scale_f32 v16, null, v2, v2, v4
	v_div_scale_f32 v19, s0, v4, v2, v4
	s_delay_alu instid0(VALU_DEP_2) | instskip(SKIP_1) | instid1(TRANS32_DEP_1)
	v_rcp_f32_e32 v18, v16
	v_nop
	v_fma_f32 v20, -v16, v18, 1.0
	s_delay_alu instid0(VALU_DEP_1) | instskip(NEXT) | instid1(VALU_DEP_1)
	v_dual_fmac_f32 v18, v20, v18 :: v_dual_mul_f32 v20, v21, v17
	v_fma_f32 v23, -v15, v20, v21
	s_delay_alu instid0(VALU_DEP_1) | instskip(NEXT) | instid1(VALU_DEP_1)
	v_fmac_f32_e32 v20, v23, v17
	v_fma_f32 v15, -v15, v20, v21
	s_delay_alu instid0(VALU_DEP_1) | instskip(SKIP_1) | instid1(VALU_DEP_1)
	v_div_fmas_f32 v15, v15, v17, v20
	s_mov_b32 vcc_lo, s0
	v_div_fixup_f32 v5, v15, v3, v5
	v_mul_f32_e32 v22, v19, v18
	s_delay_alu instid0(VALU_DEP_1) | instskip(NEXT) | instid1(VALU_DEP_1)
	v_fma_f32 v24, -v16, v22, v19
	v_fmac_f32_e32 v22, v24, v18
	s_delay_alu instid0(VALU_DEP_1) | instskip(NEXT) | instid1(VALU_DEP_1)
	v_fma_f32 v16, -v16, v22, v19
	v_div_fmas_f32 v16, v16, v18, v22
	s_delay_alu instid0(VALU_DEP_1) | instskip(NEXT) | instid1(VALU_DEP_1)
	v_div_fixup_f32 v4, v16, v2, v4
	v_sub_f32_e32 v4, v4, v5
	s_delay_alu instid0(VALU_DEP_1) | instskip(SKIP_1) | instid1(VALU_DEP_2)
	v_mul_f32_e32 v5, 0x3fb8aa3b, v4
	v_cmp_ngt_f32_e32 vcc_lo, 0xc2ce8ed0, v4
	v_fma_f32 v15, 0x3fb8aa3b, v4, -v5
	v_rndne_f32_e32 v16, v5
	s_delay_alu instid0(VALU_DEP_2) | instskip(NEXT) | instid1(VALU_DEP_2)
	v_fmac_f32_e32 v15, 0x32a5705f, v4
	v_sub_f32_e32 v5, v5, v16
	s_delay_alu instid0(VALU_DEP_1) | instskip(SKIP_1) | instid1(VALU_DEP_2)
	v_add_f32_e32 v5, v5, v15
	v_cvt_i32_f32_e32 v15, v16
	v_exp_f32_e32 v5, v5
	v_nop
	s_delay_alu instid0(TRANS32_DEP_1) | instskip(NEXT) | instid1(VALU_DEP_1)
	v_ldexp_f32 v5, v5, v15
	v_cndmask_b32_e32 v5, 0, v5, vcc_lo
	v_cmp_nlt_f32_e32 vcc_lo, 0x42b17218, v4
	s_delay_alu instid0(VALU_DEP_2) | instskip(NEXT) | instid1(VALU_DEP_1)
	v_cndmask_b32_e32 v4, 0x7f800000, v5, vcc_lo
	v_mul_f32_e32 v5, s6, v4
	s_delay_alu instid0(VALU_DEP_1) | instskip(NEXT) | instid1(VALU_DEP_1)
	v_mul_f32_e32 v4, v14, v5
	v_pk_add_f32 v[4:5], v[6:7], v[4:5]
	s_cbranch_scc1 .LBB2_4
; %bb.6:                                ;   in Loop: Header=BB2_5 Depth=2
	v_sub_nc_u32_e32 v6, -10, v13
	s_add_co_i32 s3, s3, 2
	s_delay_alu instid0(VALU_DEP_1) | instskip(NEXT) | instid1(VALU_DEP_1)
	v_add_max_i32_e64 v6, v13, 10, v6
	v_cmp_gt_i32_e32 vcc_lo, s5, v6
	v_cndmask_b32_e32 v6, s7, v6, vcc_lo
	s_add_co_i32 s7, s7, -2
	s_delay_alu instid0(VALU_DEP_1) | instskip(SKIP_3) | instid1(VALU_DEP_1)
	v_mad_u32 v7, v6, s4, v11
	global_load_b32 v13, v7, s[8:9] scale_offset
	s_wait_loadcnt 0x0
	v_sub_f32_e32 v7, v10, v13
	v_mul_f32_e32 v7, v7, v7
	s_delay_alu instid0(VALU_DEP_1) | instskip(SKIP_1) | instid1(VALU_DEP_2)
	v_div_scale_f32 v14, null, v3, v3, v7
	v_div_scale_f32 v20, vcc_lo, v7, v3, v7
	v_rcp_f32_e32 v16, v14
	v_nop
	s_delay_alu instid0(TRANS32_DEP_1) | instskip(NEXT) | instid1(VALU_DEP_1)
	v_fma_f32 v18, -v14, v16, 1.0
	v_fmac_f32_e32 v16, v18, v16
	v_sub_nc_u32_e32 v6, v6, v9
	s_delay_alu instid0(VALU_DEP_1) | instskip(NEXT) | instid1(VALU_DEP_1)
	v_mad_u32 v6, v6, v6, v12
	v_sub_nc_u32_e32 v6, 0, v6
	s_delay_alu instid0(VALU_DEP_1) | instskip(NEXT) | instid1(VALU_DEP_1)
	v_cvt_f32_i32_e32 v6, v6
	v_div_scale_f32 v15, null, v2, v2, v6
	v_div_scale_f32 v18, s0, v6, v2, v6
	s_delay_alu instid0(VALU_DEP_2) | instskip(SKIP_1) | instid1(TRANS32_DEP_1)
	v_rcp_f32_e32 v17, v15
	v_nop
	v_fma_f32 v19, -v15, v17, 1.0
	s_delay_alu instid0(VALU_DEP_1) | instskip(NEXT) | instid1(VALU_DEP_1)
	v_fmac_f32_e32 v17, v19, v17
	v_dual_mul_f32 v21, v18, v17 :: v_dual_mul_f32 v19, v20, v16
	s_delay_alu instid0(VALU_DEP_1) | instskip(NEXT) | instid1(VALU_DEP_1)
	v_dual_fma_f32 v23, -v15, v21, v18 :: v_dual_fma_f32 v22, -v14, v19, v20
	v_dual_fmac_f32 v21, v23, v17 :: v_dual_fmac_f32 v19, v22, v16
	s_delay_alu instid0(VALU_DEP_1) | instskip(NEXT) | instid1(VALU_DEP_1)
	v_dual_fma_f32 v15, -v15, v21, v18 :: v_dual_fma_f32 v14, -v14, v19, v20
	v_div_fmas_f32 v14, v14, v16, v19
	s_mov_b32 vcc_lo, s0
	s_delay_alu instid0(VALU_DEP_2) | instskip(NEXT) | instid1(VALU_DEP_2)
	v_div_fmas_f32 v15, v15, v17, v21
	v_div_fixup_f32 v7, v14, v3, v7
	s_delay_alu instid0(VALU_DEP_2) | instskip(NEXT) | instid1(VALU_DEP_1)
	v_div_fixup_f32 v6, v15, v2, v6
	v_sub_f32_e32 v6, v6, v7
	s_delay_alu instid0(VALU_DEP_1) | instskip(NEXT) | instid1(VALU_DEP_1)
	v_mul_f32_e32 v7, 0x3fb8aa3b, v6
	v_fma_f32 v14, 0x3fb8aa3b, v6, -v7
	v_rndne_f32_e32 v15, v7
	s_delay_alu instid0(VALU_DEP_1) | instskip(NEXT) | instid1(VALU_DEP_1)
	v_dual_fmac_f32 v14, 0x32a5705f, v6 :: v_dual_sub_f32 v7, v7, v15
	v_add_f32_e32 v7, v7, v14
	v_cvt_i32_f32_e32 v14, v15
	v_cmp_ngt_f32_e32 vcc_lo, 0xc2ce8ed0, v6
	s_delay_alu instid0(VALU_DEP_3) | instskip(SKIP_1) | instid1(TRANS32_DEP_1)
	v_exp_f32_e32 v7, v7
	v_nop
	v_ldexp_f32 v7, v7, v14
	s_delay_alu instid0(VALU_DEP_1) | instskip(SKIP_1) | instid1(VALU_DEP_2)
	v_cndmask_b32_e32 v7, 0, v7, vcc_lo
	v_cmp_nlt_f32_e32 vcc_lo, 0x42b17218, v6
	v_cndmask_b32_e32 v6, 0x7f800000, v7, vcc_lo
	s_delay_alu instid0(VALU_DEP_1) | instskip(NEXT) | instid1(VALU_DEP_1)
	v_mul_f32_e32 v7, s6, v6
	v_mul_f32_e32 v6, v13, v7
	s_delay_alu instid0(VALU_DEP_1)
	v_pk_add_f32 v[6:7], v[4:5], v[6:7]
	s_cbranch_execnz .LBB2_5
	s_branch .LBB2_2
.LBB2_7:
	v_div_scale_f32 v2, null, v5, v5, v4
	v_div_scale_f32 v7, vcc_lo, v4, v5, v4
	v_lshl_add_u64 v[0:1], v[0:1], 2, s[10:11]
	s_delay_alu instid0(VALU_DEP_3) | instskip(SKIP_1) | instid1(TRANS32_DEP_1)
	v_rcp_f32_e32 v3, v2
	v_nop
	v_fma_f32 v6, -v2, v3, 1.0
	s_delay_alu instid0(VALU_DEP_1) | instskip(NEXT) | instid1(VALU_DEP_1)
	v_fmac_f32_e32 v3, v6, v3
	v_mul_f32_e32 v6, v7, v3
	s_delay_alu instid0(VALU_DEP_1) | instskip(NEXT) | instid1(VALU_DEP_1)
	v_fma_f32 v8, -v2, v6, v7
	v_fmac_f32_e32 v6, v8, v3
	s_delay_alu instid0(VALU_DEP_1) | instskip(NEXT) | instid1(VALU_DEP_1)
	v_fma_f32 v2, -v2, v6, v7
	v_div_fmas_f32 v2, v2, v3, v6
	s_delay_alu instid0(VALU_DEP_1)
	v_div_fixup_f32 v2, v2, v5, v4
	global_store_b32 v[0:1], v2, off
.LBB2_8:
	s_endpgm
	.section	.rodata,"a",@progbits
	.p2align	6, 0x0
	.amdhsa_kernel _Z15bilateralFilterILi9EEvPKfPfiifff
		.amdhsa_group_segment_fixed_size 0
		.amdhsa_private_segment_fixed_size 0
		.amdhsa_kernarg_size 296
		.amdhsa_user_sgpr_count 2
		.amdhsa_user_sgpr_dispatch_ptr 0
		.amdhsa_user_sgpr_queue_ptr 0
		.amdhsa_user_sgpr_kernarg_segment_ptr 1
		.amdhsa_user_sgpr_dispatch_id 0
		.amdhsa_user_sgpr_kernarg_preload_length 0
		.amdhsa_user_sgpr_kernarg_preload_offset 0
		.amdhsa_user_sgpr_private_segment_size 0
		.amdhsa_wavefront_size32 1
		.amdhsa_uses_dynamic_stack 0
		.amdhsa_enable_private_segment 0
		.amdhsa_system_sgpr_workgroup_id_x 1
		.amdhsa_system_sgpr_workgroup_id_y 1
		.amdhsa_system_sgpr_workgroup_id_z 0
		.amdhsa_system_sgpr_workgroup_info 0
		.amdhsa_system_vgpr_workitem_id 1
		.amdhsa_next_free_vgpr 25
		.amdhsa_next_free_sgpr 12
		.amdhsa_named_barrier_count 0
		.amdhsa_reserve_vcc 1
		.amdhsa_float_round_mode_32 0
		.amdhsa_float_round_mode_16_64 0
		.amdhsa_float_denorm_mode_32 3
		.amdhsa_float_denorm_mode_16_64 3
		.amdhsa_fp16_overflow 0
		.amdhsa_memory_ordered 1
		.amdhsa_forward_progress 1
		.amdhsa_inst_pref_size 11
		.amdhsa_round_robin_scheduling 0
		.amdhsa_exception_fp_ieee_invalid_op 0
		.amdhsa_exception_fp_denorm_src 0
		.amdhsa_exception_fp_ieee_div_zero 0
		.amdhsa_exception_fp_ieee_overflow 0
		.amdhsa_exception_fp_ieee_underflow 0
		.amdhsa_exception_fp_ieee_inexact 0
		.amdhsa_exception_int_div_zero 0
	.end_amdhsa_kernel
	.section	.text._Z15bilateralFilterILi9EEvPKfPfiifff,"axG",@progbits,_Z15bilateralFilterILi9EEvPKfPfiifff,comdat
.Lfunc_end2:
	.size	_Z15bilateralFilterILi9EEvPKfPfiifff, .Lfunc_end2-_Z15bilateralFilterILi9EEvPKfPfiifff
                                        ; -- End function
	.set _Z15bilateralFilterILi9EEvPKfPfiifff.num_vgpr, 25
	.set _Z15bilateralFilterILi9EEvPKfPfiifff.num_agpr, 0
	.set _Z15bilateralFilterILi9EEvPKfPfiifff.numbered_sgpr, 12
	.set _Z15bilateralFilterILi9EEvPKfPfiifff.num_named_barrier, 0
	.set _Z15bilateralFilterILi9EEvPKfPfiifff.private_seg_size, 0
	.set _Z15bilateralFilterILi9EEvPKfPfiifff.uses_vcc, 1
	.set _Z15bilateralFilterILi9EEvPKfPfiifff.uses_flat_scratch, 0
	.set _Z15bilateralFilterILi9EEvPKfPfiifff.has_dyn_sized_stack, 0
	.set _Z15bilateralFilterILi9EEvPKfPfiifff.has_recursion, 0
	.set _Z15bilateralFilterILi9EEvPKfPfiifff.has_indirect_call, 0
	.section	.AMDGPU.csdata,"",@progbits
; Kernel info:
; codeLenInByte = 1316
; TotalNumSgprs: 14
; NumVgprs: 25
; ScratchSize: 0
; MemoryBound: 0
; FloatMode: 240
; IeeeMode: 1
; LDSByteSize: 0 bytes/workgroup (compile time only)
; SGPRBlocks: 0
; VGPRBlocks: 1
; NumSGPRsForWavesPerEU: 14
; NumVGPRsForWavesPerEU: 25
; NamedBarCnt: 0
; Occupancy: 16
; WaveLimiterHint : 0
; COMPUTE_PGM_RSRC2:SCRATCH_EN: 0
; COMPUTE_PGM_RSRC2:USER_SGPR: 2
; COMPUTE_PGM_RSRC2:TRAP_HANDLER: 0
; COMPUTE_PGM_RSRC2:TGID_X_EN: 1
; COMPUTE_PGM_RSRC2:TGID_Y_EN: 1
; COMPUTE_PGM_RSRC2:TGID_Z_EN: 0
; COMPUTE_PGM_RSRC2:TIDIG_COMP_CNT: 1
	.section	.AMDGPU.gpr_maximums,"",@progbits
	.set amdgpu.max_num_vgpr, 0
	.set amdgpu.max_num_agpr, 0
	.set amdgpu.max_num_sgpr, 0
	.section	.AMDGPU.csdata,"",@progbits
	.type	__hip_cuid_1447dedce004ad86,@object ; @__hip_cuid_1447dedce004ad86
	.section	.bss,"aw",@nobits
	.globl	__hip_cuid_1447dedce004ad86
__hip_cuid_1447dedce004ad86:
	.byte	0                               ; 0x0
	.size	__hip_cuid_1447dedce004ad86, 1

	.ident	"AMD clang version 22.0.0git (https://github.com/RadeonOpenCompute/llvm-project roc-7.2.4 26084 f58b06dce1f9c15707c5f808fd002e18c2accf7e)"
	.section	".note.GNU-stack","",@progbits
	.addrsig
	.addrsig_sym __hip_cuid_1447dedce004ad86
	.amdgpu_metadata
---
amdhsa.kernels:
  - .args:
      - .actual_access:  read_only
        .address_space:  global
        .offset:         0
        .size:           8
        .value_kind:     global_buffer
      - .actual_access:  write_only
        .address_space:  global
        .offset:         8
        .size:           8
        .value_kind:     global_buffer
      - .offset:         16
        .size:           4
        .value_kind:     by_value
      - .offset:         20
        .size:           4
        .value_kind:     by_value
      - .offset:         24
        .size:           4
        .value_kind:     by_value
      - .offset:         28
        .size:           4
        .value_kind:     by_value
      - .offset:         32
        .size:           4
        .value_kind:     by_value
      - .offset:         40
        .size:           4
        .value_kind:     hidden_block_count_x
      - .offset:         44
        .size:           4
        .value_kind:     hidden_block_count_y
      - .offset:         48
        .size:           4
        .value_kind:     hidden_block_count_z
      - .offset:         52
        .size:           2
        .value_kind:     hidden_group_size_x
      - .offset:         54
        .size:           2
        .value_kind:     hidden_group_size_y
      - .offset:         56
        .size:           2
        .value_kind:     hidden_group_size_z
      - .offset:         58
        .size:           2
        .value_kind:     hidden_remainder_x
      - .offset:         60
        .size:           2
        .value_kind:     hidden_remainder_y
      - .offset:         62
        .size:           2
        .value_kind:     hidden_remainder_z
      - .offset:         80
        .size:           8
        .value_kind:     hidden_global_offset_x
      - .offset:         88
        .size:           8
        .value_kind:     hidden_global_offset_y
      - .offset:         96
        .size:           8
        .value_kind:     hidden_global_offset_z
      - .offset:         104
        .size:           2
        .value_kind:     hidden_grid_dims
    .group_segment_fixed_size: 0
    .kernarg_segment_align: 8
    .kernarg_segment_size: 296
    .language:       OpenCL C
    .language_version:
      - 2
      - 0
    .max_flat_workgroup_size: 1024
    .name:           _Z15bilateralFilterILi3EEvPKfPfiifff
    .private_segment_fixed_size: 0
    .sgpr_count:     14
    .sgpr_spill_count: 0
    .symbol:         _Z15bilateralFilterILi3EEvPKfPfiifff.kd
    .uniform_work_group_size: 1
    .uses_dynamic_stack: false
    .vgpr_count:     25
    .vgpr_spill_count: 0
    .wavefront_size: 32
  - .args:
      - .actual_access:  read_only
        .address_space:  global
        .offset:         0
        .size:           8
        .value_kind:     global_buffer
      - .actual_access:  write_only
        .address_space:  global
        .offset:         8
        .size:           8
        .value_kind:     global_buffer
      - .offset:         16
        .size:           4
        .value_kind:     by_value
      - .offset:         20
        .size:           4
        .value_kind:     by_value
      - .offset:         24
        .size:           4
        .value_kind:     by_value
      - .offset:         28
        .size:           4
        .value_kind:     by_value
      - .offset:         32
        .size:           4
        .value_kind:     by_value
      - .offset:         40
        .size:           4
        .value_kind:     hidden_block_count_x
      - .offset:         44
        .size:           4
        .value_kind:     hidden_block_count_y
      - .offset:         48
        .size:           4
        .value_kind:     hidden_block_count_z
      - .offset:         52
        .size:           2
        .value_kind:     hidden_group_size_x
      - .offset:         54
        .size:           2
        .value_kind:     hidden_group_size_y
      - .offset:         56
        .size:           2
        .value_kind:     hidden_group_size_z
      - .offset:         58
        .size:           2
        .value_kind:     hidden_remainder_x
      - .offset:         60
        .size:           2
        .value_kind:     hidden_remainder_y
      - .offset:         62
        .size:           2
        .value_kind:     hidden_remainder_z
      - .offset:         80
        .size:           8
        .value_kind:     hidden_global_offset_x
      - .offset:         88
        .size:           8
        .value_kind:     hidden_global_offset_y
      - .offset:         96
        .size:           8
        .value_kind:     hidden_global_offset_z
      - .offset:         104
        .size:           2
        .value_kind:     hidden_grid_dims
    .group_segment_fixed_size: 0
    .kernarg_segment_align: 8
    .kernarg_segment_size: 296
    .language:       OpenCL C
    .language_version:
      - 2
      - 0
    .max_flat_workgroup_size: 1024
    .name:           _Z15bilateralFilterILi6EEvPKfPfiifff
    .private_segment_fixed_size: 0
    .sgpr_count:     14
    .sgpr_spill_count: 0
    .symbol:         _Z15bilateralFilterILi6EEvPKfPfiifff.kd
    .uniform_work_group_size: 1
    .uses_dynamic_stack: false
    .vgpr_count:     25
    .vgpr_spill_count: 0
    .wavefront_size: 32
  - .args:
      - .actual_access:  read_only
        .address_space:  global
        .offset:         0
        .size:           8
        .value_kind:     global_buffer
      - .actual_access:  write_only
        .address_space:  global
        .offset:         8
        .size:           8
        .value_kind:     global_buffer
      - .offset:         16
        .size:           4
        .value_kind:     by_value
      - .offset:         20
        .size:           4
        .value_kind:     by_value
      - .offset:         24
        .size:           4
        .value_kind:     by_value
      - .offset:         28
        .size:           4
        .value_kind:     by_value
      - .offset:         32
        .size:           4
        .value_kind:     by_value
      - .offset:         40
        .size:           4
        .value_kind:     hidden_block_count_x
      - .offset:         44
        .size:           4
        .value_kind:     hidden_block_count_y
      - .offset:         48
        .size:           4
        .value_kind:     hidden_block_count_z
      - .offset:         52
        .size:           2
        .value_kind:     hidden_group_size_x
      - .offset:         54
        .size:           2
        .value_kind:     hidden_group_size_y
      - .offset:         56
        .size:           2
        .value_kind:     hidden_group_size_z
      - .offset:         58
        .size:           2
        .value_kind:     hidden_remainder_x
      - .offset:         60
        .size:           2
        .value_kind:     hidden_remainder_y
      - .offset:         62
        .size:           2
        .value_kind:     hidden_remainder_z
      - .offset:         80
        .size:           8
        .value_kind:     hidden_global_offset_x
      - .offset:         88
        .size:           8
        .value_kind:     hidden_global_offset_y
      - .offset:         96
        .size:           8
        .value_kind:     hidden_global_offset_z
      - .offset:         104
        .size:           2
        .value_kind:     hidden_grid_dims
    .group_segment_fixed_size: 0
    .kernarg_segment_align: 8
    .kernarg_segment_size: 296
    .language:       OpenCL C
    .language_version:
      - 2
      - 0
    .max_flat_workgroup_size: 1024
    .name:           _Z15bilateralFilterILi9EEvPKfPfiifff
    .private_segment_fixed_size: 0
    .sgpr_count:     14
    .sgpr_spill_count: 0
    .symbol:         _Z15bilateralFilterILi9EEvPKfPfiifff.kd
    .uniform_work_group_size: 1
    .uses_dynamic_stack: false
    .vgpr_count:     25
    .vgpr_spill_count: 0
    .wavefront_size: 32
amdhsa.target:   amdgcn-amd-amdhsa--gfx1250
amdhsa.version:
  - 1
  - 2
...

	.end_amdgpu_metadata
